;; amdgpu-corpus repo=ROCm/rocFFT kind=compiled arch=gfx1201 opt=O3
	.text
	.amdgcn_target "amdgcn-amd-amdhsa--gfx1201"
	.amdhsa_code_object_version 6
	.protected	fft_rtc_back_len128_factors_8_4_4_wgs_128_tpt_16_sp_op_CI_CI_sbrc_erc_z_xy_aligned ; -- Begin function fft_rtc_back_len128_factors_8_4_4_wgs_128_tpt_16_sp_op_CI_CI_sbrc_erc_z_xy_aligned
	.globl	fft_rtc_back_len128_factors_8_4_4_wgs_128_tpt_16_sp_op_CI_CI_sbrc_erc_z_xy_aligned
	.p2align	8
	.type	fft_rtc_back_len128_factors_8_4_4_wgs_128_tpt_16_sp_op_CI_CI_sbrc_erc_z_xy_aligned,@function
fft_rtc_back_len128_factors_8_4_4_wgs_128_tpt_16_sp_op_CI_CI_sbrc_erc_z_xy_aligned: ; @fft_rtc_back_len128_factors_8_4_4_wgs_128_tpt_16_sp_op_CI_CI_sbrc_erc_z_xy_aligned
; %bb.0:
	s_load_b256 s[4:11], s[0:1], 0x0
	v_and_b32_e32 v21, 15, v0
	v_lshl_add_u32 v19, v0, 3, 0
	s_delay_alu instid0(VALU_DEP_1)
	v_add_nc_u32_e32 v20, 0x800, v19
	v_add_nc_u32_e32 v22, 0x1000, v19
	v_add_nc_u32_e32 v23, 0x1800, v19
	s_wait_kmcnt 0x0
	s_load_b128 s[12:15], s[8:9], 0x8
	s_wait_kmcnt 0x0
	s_add_co_i32 s2, s12, -1
	s_delay_alu instid0(SALU_CYCLE_1) | instskip(NEXT) | instid1(SALU_CYCLE_1)
	s_lshr_b32 s2, s2, 3
	s_add_co_i32 s3, s2, 1
	s_delay_alu instid0(SALU_CYCLE_1) | instskip(SKIP_3) | instid1(SALU_CYCLE_2)
	s_mul_i32 s8, s3, s14
	s_cvt_f32_u32 s12, s3
	s_cvt_f32_u32 s9, s8
	s_sub_co_i32 s13, 0, s8
	v_rcp_iflag_f32_e32 v1, s9
	s_delay_alu instid0(TRANS32_DEP_1) | instskip(SKIP_1) | instid1(VALU_DEP_1)
	v_readfirstlane_b32 s9, v1
	v_rcp_iflag_f32_e32 v1, s12
	s_mul_f32 s9, s9, 0x4f7ffffe
	s_wait_alu 0xfffe
	s_delay_alu instid0(SALU_CYCLE_2) | instskip(NEXT) | instid1(TRANS32_DEP_1)
	s_cvt_u32_f32 s9, s9
	v_readfirstlane_b32 s16, v1
	s_wait_alu 0xfffe
	s_delay_alu instid0(SALU_CYCLE_1)
	s_mul_i32 s13, s13, s9
	s_wait_alu 0xfffe
	s_mul_hi_u32 s12, s9, s13
	s_mul_f32 s16, s16, 0x4f7ffffe
	s_wait_alu 0xfffe
	s_add_co_i32 s9, s9, s12
	s_load_b128 s[12:15], s[10:11], 0x0
	s_mul_hi_u32 s9, ttmp9, s9
	s_wait_kmcnt 0x0
	s_wait_alu 0xfffe
	s_mul_i32 s15, s9, s8
	s_add_co_i32 s17, s9, 1
	s_sub_co_i32 s15, ttmp9, s15
	s_delay_alu instid0(SALU_CYCLE_1)
	s_sub_co_i32 s18, s15, s8
	s_cmp_ge_u32 s15, s8
	s_cselect_b32 s9, s17, s9
	s_cselect_b32 s15, s18, s15
	s_wait_alu 0xfffe
	s_add_co_i32 s17, s9, 1
	s_cmp_ge_u32 s15, s8
	s_cvt_u32_f32 s15, s16
	s_cselect_b32 s18, s17, s9
	s_not_b32 s2, s2
	s_mul_i32 s8, s18, s8
	s_mul_i32 s2, s2, s15
	s_wait_alu 0xfffe
	s_sub_co_i32 s8, ttmp9, s8
	s_mul_hi_u32 s2, s15, s2
	v_mad_co_u64_u32 v[1:2], null, s12, v0, 0
	s_add_co_i32 s15, s15, s2
	s_load_b32 s9, s[10:11], 0x10
	s_mul_hi_u32 s2, s8, s15
	s_mul_hi_u32 s15, ttmp9, s15
	s_mul_i32 s16, s2, s3
	s_add_co_i32 s12, s2, 1
	s_sub_co_i32 s8, s8, s16
	s_mul_i32 s15, s15, s3
	s_wait_alu 0xfffe
	s_sub_co_i32 s16, s8, s3
	s_cmp_ge_u32 s8, s3
	v_mad_co_u64_u32 v[2:3], null, s13, v0, v[2:3]
	s_cselect_b32 s2, s12, s2
	s_cselect_b32 s8, s16, s8
	s_add_co_i32 s12, s2, 1
	s_wait_alu 0xfffe
	s_cmp_ge_u32 s8, s3
	s_mov_b32 s17, 0
	s_cselect_b32 s22, s12, s2
	s_sub_co_i32 s2, ttmp9, s15
	s_mov_b32 s19, s17
	s_sub_co_i32 s8, s2, s3
	s_cmp_ge_u32 s2, s3
	v_lshlrev_b64_e32 v[1:2], 3, v[1:2]
	s_wait_alu 0xfffe
	s_cselect_b32 s2, s8, s2
	s_delay_alu instid0(SALU_CYCLE_1)
	s_sub_co_i32 s8, s2, s3
	s_cmp_ge_u32 s2, s3
	s_wait_alu 0xfffe
	s_cselect_b32 s8, s8, s2
	s_lshl_b64 s[20:21], s[6:7], 3
	s_wait_alu 0xfffe
	s_lshl_b32 s6, s8, 3
	s_add_nc_u64 s[2:3], s[10:11], s[20:21]
	s_mul_i32 s15, s6, s14
	s_load_b64 s[2:3], s[2:3], 0x0
	s_wait_kmcnt 0x0
	s_mul_i32 s7, s22, s9
	s_clause 0x1
	s_load_b128 s[8:11], s[0:1], 0x58
	s_load_b64 s[12:13], s[0:1], 0x20
	s_add_co_i32 s16, s15, s7
	s_mov_b32 s15, s17
	s_lshl_b64 s[0:1], s[16:17], 3
	s_lshl_b64 s[30:31], s[14:15], 3
	s_add_co_i32 s16, s14, s14
	s_mov_b32 s7, s17
	s_lshl_b64 s[24:25], s[16:17], 3
	s_add_co_i32 s16, s16, s14
	s_delay_alu instid0(SALU_CYCLE_1) | instskip(SKIP_1) | instid1(SALU_CYCLE_1)
	s_lshl_b64 s[26:27], s[16:17], 3
	s_add_co_i32 s16, s16, s14
	s_lshl_b64 s[28:29], s[16:17], 3
	s_add_co_i32 s16, s16, s14
	s_delay_alu instid0(SALU_CYCLE_1)
	s_lshl_b64 s[34:35], s[16:17], 3
	s_add_co_i32 s16, s16, s14
	s_mul_u64 s[2:3], s[2:3], s[18:19]
	s_lshl_b64 s[36:37], s[16:17], 3
	s_lshl_b64 s[2:3], s[2:3], 3
	s_add_co_i32 s16, s16, s14
	s_wait_kmcnt 0x0
	s_add_nc_u64 s[2:3], s[8:9], s[2:3]
	s_delay_alu instid0(SALU_CYCLE_1) | instskip(NEXT) | instid1(SALU_CYCLE_1)
	s_add_nc_u64 s[0:1], s[2:3], s[0:1]
	v_add_co_u32 v1, vcc_lo, s0, v1
	v_add_co_ci_u32_e32 v2, vcc_lo, s1, v2, vcc_lo
	s_lshl_b64 s[0:1], s[16:17], 3
	s_delay_alu instid0(VALU_DEP_2) | instskip(SKIP_1) | instid1(VALU_DEP_2)
	v_add_co_u32 v3, vcc_lo, v1, s30
	s_wait_alu 0xfffd
	v_add_co_ci_u32_e32 v4, vcc_lo, s31, v2, vcc_lo
	v_add_co_u32 v5, vcc_lo, v1, s24
	s_wait_alu 0xfffd
	v_add_co_ci_u32_e32 v6, vcc_lo, s25, v2, vcc_lo
	;; [unrolled: 3-line block ×6, first 2 shown]
	s_wait_alu 0xfffe
	v_add_co_u32 v15, vcc_lo, v1, s0
	s_wait_alu 0xfffd
	v_add_co_ci_u32_e32 v16, vcc_lo, s1, v2, vcc_lo
	s_clause 0x7
	global_load_b64 v[17:18], v[1:2], off
	global_load_b64 v[3:4], v[3:4], off
	global_load_b64 v[5:6], v[5:6], off
	global_load_b64 v[7:8], v[7:8], off
	global_load_b64 v[9:10], v[9:10], off
	global_load_b64 v[11:12], v[11:12], off
	global_load_b64 v[13:14], v[13:14], off
	global_load_b64 v[15:16], v[15:16], off
	v_lshrrev_b32_e32 v1, 4, v0
	v_lshlrev_b32_e32 v2, 3, v21
	s_clause 0x1
	s_load_b128 s[0:3], s[12:13], 0x0
	s_load_b64 s[8:9], s[12:13], 0x10
	s_add_nc_u64 s[12:13], s[12:13], s[20:21]
	s_wait_kmcnt 0x0
	s_mov_b32 s3, s17
	v_mul_u32_u24_e32 v1, 0x81, v1
	s_load_b64 s[12:13], s[12:13], 0x0
	v_cmp_gt_u32_e32 vcc_lo, 8, v0
	s_wait_loadcnt 0x6
	ds_store_2addr_b64 v19, v[17:18], v[3:4] offset1:129
	s_wait_loadcnt 0x4
	ds_store_2addr_b64 v20, v[5:6], v[7:8] offset0:2 offset1:131
	s_wait_loadcnt 0x2
	ds_store_2addr_b64 v22, v[9:10], v[11:12] offset0:4 offset1:133
	;; [unrolled: 2-line block ×3, first 2 shown]
	v_lshlrev_b32_e32 v1, 3, v1
	global_wb scope:SCOPE_SE
	s_wait_dscnt 0x0
	s_wait_kmcnt 0x0
	s_barrier_signal -1
	s_barrier_wait -1
	global_inv scope:SCOPE_SE
	v_add_nc_u32_e32 v24, 0, v1
	v_add3_u32 v1, 0, v2, v1
	s_lshl_b32 s9, s8, 4
	s_mul_i32 s2, s22, s2
	s_delay_alu instid0(VALU_DEP_2)
	v_add_nc_u32_e32 v2, v24, v2
	ds_load_2addr_b64 v[3:6], v1 offset0:48 offset1:64
	ds_load_b64 v[15:16], v2
	ds_load_2addr_b64 v[7:10], v1 offset0:16 offset1:32
	ds_load_2addr_b64 v[11:14], v1 offset0:80 offset1:96
	ds_load_b64 v[17:18], v1 offset:896
	v_and_b32_e32 v29, 7, v0
	global_wb scope:SCOPE_SE
	s_wait_dscnt 0x0
	s_barrier_signal -1
	s_barrier_wait -1
	global_inv scope:SCOPE_SE
	s_lshl_b64 s[2:3], s[2:3], 3
	v_dual_sub_f32 v6, v16, v6 :: v_dual_sub_f32 v5, v15, v5
	v_dual_sub_f32 v13, v9, v13 :: v_dual_sub_f32 v18, v4, v18
	;; [unrolled: 1-line block ×3, first 2 shown]
	v_mul_u32_u24_e32 v19, 3, v29
	v_dual_sub_f32 v12, v8, v12 :: v_dual_sub_f32 v17, v3, v17
	v_fma_f32 v16, v16, 2.0, -v6
	v_fma_f32 v9, v9, 2.0, -v13
	;; [unrolled: 1-line block ×3, first 2 shown]
	v_dual_sub_f32 v20, v6, v13 :: v_dual_add_f32 v13, v11, v18
	v_dual_add_f32 v14, v5, v14 :: v_dual_lshlrev_b32 v19, 3, v19
	v_fma_f32 v7, v7, 2.0, -v11
	v_fma_f32 v3, v3, 2.0, -v17
	s_delay_alu instid0(VALU_DEP_4)
	v_fma_f32 v11, v11, 2.0, -v13
	v_sub_f32_e32 v17, v12, v17
	v_fma_f32 v15, v15, 2.0, -v5
	v_fma_f32 v8, v8, 2.0, -v12
	v_fma_f32 v4, v4, 2.0, -v18
	v_sub_f32_e32 v23, v16, v10
	v_fma_f32 v25, v5, 2.0, -v14
	v_fma_f32 v26, v6, 2.0, -v20
	;; [unrolled: 1-line block ×3, first 2 shown]
	v_sub_f32_e32 v18, v15, v9
	v_dual_sub_f32 v9, v7, v3 :: v_dual_sub_f32 v10, v8, v4
	s_delay_alu instid0(VALU_DEP_3) | instskip(SKIP_1) | instid1(VALU_DEP_4)
	v_dual_fmamk_f32 v5, v11, 0xbf3504f3, v25 :: v_dual_fmamk_f32 v6, v12, 0xbf3504f3, v26
	v_fmamk_f32 v3, v13, 0x3f3504f3, v14
	v_fma_f32 v15, v15, 2.0, -v18
	v_fma_f32 v16, v16, 2.0, -v23
	;; [unrolled: 1-line block ×4, first 2 shown]
	v_fmac_f32_e32 v6, 0xbf3504f3, v11
	v_dual_fmamk_f32 v4, v17, 0x3f3504f3, v20 :: v_dual_add_f32 v7, v18, v10
	v_dual_sub_f32 v8, v23, v9 :: v_dual_fmac_f32 v5, 0x3f3504f3, v12
	s_delay_alu instid0(VALU_DEP_4) | instskip(NEXT) | instid1(VALU_DEP_3)
	v_dual_fmac_f32 v3, 0x3f3504f3, v17 :: v_dual_sub_f32 v10, v16, v28
	v_dual_fmac_f32 v4, 0xbf3504f3, v13 :: v_dual_sub_f32 v9, v15, v27
	v_mad_u32_u24 v22, v21, 56, v1
	v_fma_f32 v11, v18, 2.0, -v7
	s_delay_alu instid0(VALU_DEP_4)
	v_fma_f32 v16, v16, 2.0, -v10
	v_fma_f32 v17, v25, 2.0, -v5
	;; [unrolled: 1-line block ×7, first 2 shown]
	ds_store_2addr_b64 v22, v[9:10], v[5:6] offset0:4 offset1:5
	ds_store_2addr_b64 v22, v[7:8], v[3:4] offset0:6 offset1:7
	ds_store_2addr_b64 v22, v[15:16], v[17:18] offset1:1
	ds_store_2addr_b64 v22, v[11:12], v[13:14] offset0:2 offset1:3
	global_wb scope:SCOPE_SE
	s_wait_dscnt 0x0
	s_barrier_signal -1
	s_barrier_wait -1
	global_inv scope:SCOPE_SE
	s_clause 0x1
	global_load_b128 v[3:6], v19, s[4:5]
	global_load_b64 v[19:20], v19, s[4:5] offset:16
	ds_load_2addr_b64 v[7:10], v1 offset0:32 offset1:48
	ds_load_2addr_b64 v[11:14], v1 offset0:64 offset1:80
	v_lshlrev_b32_e32 v23, 2, v0
	ds_load_2addr_b64 v[15:18], v1 offset0:96 offset1:112
	v_mad_i32_i24 v49, 0xffffffc8, v21, v22
	v_mul_u32_u24_e32 v26, 3, v21
	s_wait_loadcnt_dscnt 0x101
	s_delay_alu instid0(VALU_DEP_1) | instskip(SKIP_3) | instid1(VALU_DEP_4)
	v_dual_mul_f32 v31, v6, v12 :: v_dual_lshlrev_b32 v26, 3, v26
	v_mul_f32_e32 v30, v4, v7
	v_or_b32_e32 v25, 64, v23
	v_and_or_b32 v23, v23, 32, v29
	v_dual_mul_f32 v28, v4, v8 :: v_dual_fmac_f32 v31, v5, v11
	s_wait_loadcnt_dscnt 0x0
	v_dual_mul_f32 v32, v6, v11 :: v_dual_mul_f32 v33, v20, v16
	v_and_or_b32 v25, 0x60, v25, v29
	v_lshl_add_u32 v27, v23, 3, v24
	v_mul_f32_e32 v35, v4, v10
	v_dual_mul_f32 v37, v20, v18 :: v_dual_fmac_f32 v28, v3, v7
	s_delay_alu instid0(VALU_DEP_4)
	v_lshl_add_u32 v25, v25, 3, v24
	ds_load_b64 v[21:22], v2
	ds_load_b64 v[23:24], v49 offset:128
	v_dual_mul_f32 v36, v6, v14 :: v_dual_fmac_f32 v37, v19, v17
	v_mul_f32_e32 v6, v6, v13
	v_dual_mul_f32 v34, v20, v15 :: v_dual_fmac_f32 v35, v3, v9
	v_dual_mul_f32 v4, v4, v9 :: v_dual_fmac_f32 v33, v19, v15
	v_fma_f32 v7, v3, v8, -v30
	s_delay_alu instid0(VALU_DEP_3) | instskip(SKIP_1) | instid1(VALU_DEP_4)
	v_fma_f32 v11, v19, v16, -v34
	v_fma_f32 v8, v5, v12, -v32
	v_fma_f32 v9, v3, v10, -v4
	v_fma_f32 v3, v5, v14, -v6
	global_wb scope:SCOPE_SE
	s_wait_dscnt 0x0
	v_sub_f32_e32 v6, v7, v11
	s_barrier_signal -1
	s_barrier_wait -1
	global_inv scope:SCOPE_SE
	v_sub_f32_e32 v10, v21, v31
	v_fmac_f32_e32 v36, v5, v13
	v_sub_f32_e32 v5, v28, v33
	s_delay_alu instid0(VALU_DEP_3) | instskip(SKIP_1) | instid1(VALU_DEP_4)
	v_fma_f32 v15, v21, 2.0, -v10
	v_dual_sub_f32 v14, v24, v3 :: v_dual_add_f32 v3, v10, v6
	v_dual_mul_f32 v20, v20, v17 :: v_dual_sub_f32 v13, v23, v36
	s_delay_alu instid0(VALU_DEP_4) | instskip(NEXT) | instid1(VALU_DEP_2)
	v_fma_f32 v17, v28, 2.0, -v5
	v_fma_f32 v4, v19, v18, -v20
	s_delay_alu instid0(VALU_DEP_3) | instskip(NEXT) | instid1(VALU_DEP_2)
	v_fma_f32 v19, v23, 2.0, -v13
	v_sub_f32_e32 v11, v9, v4
	v_sub_f32_e32 v12, v22, v8
	;; [unrolled: 1-line block ×3, first 2 shown]
	v_fma_f32 v18, v7, 2.0, -v6
	v_sub_f32_e32 v7, v15, v17
	v_fma_f32 v20, v24, 2.0, -v14
	v_dual_sub_f32 v4, v12, v5 :: v_dual_add_f32 v5, v13, v11
	v_fma_f32 v16, v22, 2.0, -v12
	v_fma_f32 v21, v35, 2.0, -v8
	;; [unrolled: 1-line block ×3, first 2 shown]
	v_sub_f32_e32 v6, v14, v8
	v_fma_f32 v9, v10, 2.0, -v3
	v_sub_f32_e32 v8, v16, v18
	v_fma_f32 v10, v12, 2.0, -v4
	v_dual_sub_f32 v11, v19, v21 :: v_dual_sub_f32 v12, v20, v22
	v_fma_f32 v15, v15, 2.0, -v7
	s_delay_alu instid0(VALU_DEP_4)
	v_fma_f32 v16, v16, 2.0, -v8
	v_fma_f32 v13, v13, 2.0, -v5
	;; [unrolled: 1-line block ×5, first 2 shown]
	ds_store_2addr_b64 v27, v[7:8], v[3:4] offset0:16 offset1:24
	ds_store_2addr_b64 v25, v[11:12], v[5:6] offset0:16 offset1:24
	ds_store_2addr_b64 v27, v[15:16], v[9:10] offset1:8
	ds_store_2addr_b64 v25, v[17:18], v[13:14] offset1:8
	global_wb scope:SCOPE_SE
	s_wait_dscnt 0x0
	s_barrier_signal -1
	s_barrier_wait -1
	global_inv scope:SCOPE_SE
	s_clause 0x3
	global_load_b128 v[5:8], v26, s[4:5] offset:192
	global_load_b64 v[21:22], v26, s[4:5] offset:208
	global_load_b128 v[9:12], v26, s[4:5] offset:576
	global_load_b64 v[23:24], v26, s[4:5] offset:592
	v_lshrrev_b32_e32 v3, 3, v0
	v_mad_co_u64_u32 v[13:14], null, s0, v29, 0
	v_mov_b32_e32 v26, 0
	s_mul_u64 s[4:5], s[12:13], s[18:19]
	s_delay_alu instid0(VALU_DEP_3) | instskip(NEXT) | instid1(VALU_DEP_3)
	v_mul_lo_u32 v25, v3, s8
	v_mov_b32_e32 v3, v14
	s_delay_alu instid0(VALU_DEP_2) | instskip(SKIP_2) | instid1(VALU_DEP_3)
	v_lshlrev_b64_e32 v[15:16], 3, v[25:26]
	s_wait_alu 0xfffe
	v_add_nc_u32_e32 v25, s9, v25
	v_mad_co_u64_u32 v[17:18], null, s1, v29, v[3:4]
	v_mad_u32_u24 v3, 0x408, v29, 0
	s_mul_u64 s[0:1], s[0:1], s[6:7]
	s_delay_alu instid0(VALU_DEP_3)
	v_lshlrev_b64_e32 v[27:28], 3, v[25:26]
	v_add_nc_u32_e32 v25, s9, v25
	s_wait_alu 0xfffe
	s_lshl_b64 s[0:1], s[0:1], 3
	v_and_b32_e32 v4, 0x78, v0
	s_wait_alu 0xfffe
	s_add_nc_u64 s[0:1], s[10:11], s[0:1]
	v_lshlrev_b64_e32 v[29:30], 3, v[25:26]
	v_dual_mov_b32 v14, v17 :: v_dual_add_nc_u32 v25, s9, v25
	s_wait_alu 0xfffe
	s_add_nc_u64 s[0:1], s[0:1], s[2:3]
	s_lshl_b64 s[2:3], s[4:5], 3
	v_add_nc_u32_e32 v50, v3, v4
	v_lshlrev_b64_e32 v[31:32], 3, v[25:26]
	v_add_nc_u32_e32 v25, s9, v25
	v_lshlrev_b64_e32 v[13:14], 3, v[13:14]
	s_wait_alu 0xfffe
	s_add_nc_u64 s[0:1], s[0:1], s[2:3]
	s_delay_alu instid0(VALU_DEP_2) | instskip(SKIP_1) | instid1(VALU_DEP_2)
	v_lshlrev_b64_e32 v[33:34], 3, v[25:26]
	s_wait_alu 0xfffe
	v_add_co_u32 v0, s0, s0, v13
	s_wait_alu 0xf1ff
	v_add_co_ci_u32_e64 v4, s0, s1, v14, s0
	s_delay_alu instid0(VALU_DEP_2) | instskip(SKIP_1) | instid1(VALU_DEP_2)
	v_add_co_u32 v39, s0, v0, v15
	s_wait_alu 0xf1ff
	v_add_co_ci_u32_e64 v40, s0, v4, v16, s0
	ds_load_2addr_b64 v[13:16], v1 offset0:32 offset1:48
	ds_load_2addr_b64 v[17:20], v1 offset0:64 offset1:80
	ds_load_b64 v[41:42], v2
	ds_load_b64 v[43:44], v1 offset:768
	ds_load_2addr_b32 v[45:46], v1 offset0:224 offset1:225
	v_add_nc_u32_e32 v25, s9, v25
	ds_load_b64 v[47:48], v49 offset:128
	v_add_co_u32 v27, s0, v0, v27
	global_wb scope:SCOPE_SE
	s_wait_loadcnt_dscnt 0x0
	s_barrier_signal -1
	s_barrier_wait -1
	global_inv scope:SCOPE_SE
	s_wait_alu 0xf1ff
	v_add_co_ci_u32_e64 v28, s0, v4, v28, s0
	v_add_co_u32 v29, s0, v0, v29
	s_wait_alu 0xf1ff
	v_add_co_ci_u32_e64 v30, s0, v4, v30, s0
	v_add_co_u32 v31, s0, v0, v31
	s_wait_alu 0xf1ff
	v_add_co_ci_u32_e64 v32, s0, v4, v32, s0
	v_mul_f32_e32 v2, v6, v14
	v_lshlrev_b64_e32 v[35:36], 3, v[25:26]
	v_dual_mul_f32 v52, v22, v44 :: v_dual_add_nc_u32 v25, s9, v25
	v_mul_f32_e32 v51, v8, v18
	v_dual_mul_f32 v8, v8, v17 :: v_dual_mul_f32 v55, v46, v24
	s_delay_alu instid0(VALU_DEP_3)
	v_lshlrev_b64_e32 v[37:38], 3, v[25:26]
	v_dual_mul_f32 v22, v22, v43 :: v_dual_add_nc_u32 v25, s9, v25
	v_mul_f32_e32 v53, v10, v16
	v_dual_mul_f32 v10, v10, v15 :: v_dual_fmac_f32 v51, v7, v17
	v_mul_f32_e32 v6, v6, v13
	v_dual_mul_f32 v54, v12, v20 :: v_dual_fmac_f32 v55, v23, v45
	v_fmac_f32_e32 v2, v5, v13
	v_fmac_f32_e32 v53, v9, v15
	s_delay_alu instid0(VALU_DEP_4)
	v_fma_f32 v5, v5, v14, -v6
	v_fma_f32 v6, v7, v18, -v8
	;; [unrolled: 1-line block ×3, first 2 shown]
	v_mul_f32_e32 v24, v24, v45
	v_fmac_f32_e32 v54, v11, v19
	v_mul_f32_e32 v12, v12, v19
	v_fma_f32 v8, v9, v16, -v10
	v_sub_f32_e32 v7, v5, v7
	v_fma_f32 v10, v46, v23, -v24
	v_sub_f32_e32 v15, v47, v54
	v_fma_f32 v9, v11, v20, -v12
	v_dual_sub_f32 v11, v41, v51 :: v_dual_sub_f32 v12, v42, v6
	s_delay_alu instid0(VALU_DEP_4) | instskip(SKIP_1) | instid1(VALU_DEP_4)
	v_sub_f32_e32 v10, v8, v10
	v_fmac_f32_e32 v52, v21, v43
	v_dual_sub_f32 v16, v48, v9 :: v_dual_sub_f32 v9, v53, v55
	s_delay_alu instid0(VALU_DEP_4)
	v_fma_f32 v18, v42, 2.0, -v12
	v_fma_f32 v13, v5, 2.0, -v7
	v_add_f32_e32 v5, v11, v7
	v_add_f32_e32 v7, v15, v10
	v_fma_f32 v19, v47, 2.0, -v15
	v_fma_f32 v14, v53, 2.0, -v9
	v_sub_f32_e32 v6, v2, v52
	v_fma_f32 v17, v41, 2.0, -v11
	v_fma_f32 v21, v8, 2.0, -v10
	s_delay_alu instid0(VALU_DEP_4) | instskip(NEXT) | instid1(VALU_DEP_4)
	v_dual_sub_f32 v10, v18, v13 :: v_dual_sub_f32 v13, v19, v14
	v_fma_f32 v2, v2, 2.0, -v6
	v_fma_f32 v20, v48, 2.0, -v16
	v_sub_f32_e32 v6, v12, v6
	v_sub_f32_e32 v8, v16, v9
	v_fma_f32 v11, v11, 2.0, -v5
	s_delay_alu instid0(VALU_DEP_4) | instskip(NEXT) | instid1(VALU_DEP_4)
	v_dual_sub_f32 v9, v17, v2 :: v_dual_sub_f32 v14, v20, v21
	v_fma_f32 v12, v12, 2.0, -v6
	v_fma_f32 v18, v18, 2.0, -v10
	;; [unrolled: 1-line block ×3, first 2 shown]
	s_delay_alu instid0(VALU_DEP_4)
	v_fma_f32 v17, v17, 2.0, -v9
	v_fma_f32 v20, v20, 2.0, -v14
	;; [unrolled: 1-line block ×4, first 2 shown]
	ds_store_b64 v1, v[9:10] offset:512
	ds_store_b64 v1, v[5:6] offset:768
	ds_store_2addr_b64 v1, v[17:18], v[11:12] offset1:32
	ds_store_b64 v49, v[19:20] offset:128
	ds_store_b64 v1, v[15:16] offset:384
	;; [unrolled: 1-line block ×4, first 2 shown]
	global_wb scope:SCOPE_SE
	s_wait_dscnt 0x0
	s_barrier_signal -1
	s_barrier_wait -1
	global_inv scope:SCOPE_SE
	ds_load_2addr_b64 v[5:8], v50 offset1:16
	ds_load_2addr_b64 v[9:12], v50 offset0:32 offset1:48
	ds_load_2addr_b64 v[13:16], v50 offset0:64 offset1:80
	;; [unrolled: 1-line block ×3, first 2 shown]
	v_add_co_u32 v1, s0, v0, v33
	s_wait_alu 0xf1ff
	v_add_co_ci_u32_e64 v2, s0, v4, v34, s0
	v_add_co_u32 v21, s0, v0, v35
	v_lshlrev_b64_e32 v[23:24], 3, v[25:26]
	s_wait_alu 0xf1ff
	v_add_co_ci_u32_e64 v22, s0, v4, v36, s0
	v_add_co_u32 v25, s0, v0, v37
	s_wait_alu 0xf1ff
	v_add_co_ci_u32_e64 v26, s0, v4, v38, s0
	v_add_co_u32 v23, s0, v0, v23
	s_wait_alu 0xf1ff
	v_add_co_ci_u32_e64 v24, s0, v4, v24, s0
	s_wait_dscnt 0x3
	s_clause 0x1
	global_store_b64 v[39:40], v[5:6], off
	global_store_b64 v[27:28], v[7:8], off
	s_wait_dscnt 0x2
	s_clause 0x1
	global_store_b64 v[29:30], v[9:10], off
	global_store_b64 v[31:32], v[11:12], off
	;; [unrolled: 4-line block ×4, first 2 shown]
	s_and_saveexec_b32 s0, vcc_lo
	s_cbranch_execz .LBB0_2
; %bb.1:
	ds_load_b64 v[1:2], v3 offset:1024
	s_lshl_b32 s16, s8, 7
	s_delay_alu instid0(SALU_CYCLE_1)
	s_lshl_b64 s[0:1], s[16:17], 3
	s_wait_alu 0xfffe
	v_add_co_u32 v3, vcc_lo, v0, s0
	s_wait_alu 0xfffd
	v_add_co_ci_u32_e32 v4, vcc_lo, s1, v4, vcc_lo
	s_wait_dscnt 0x0
	global_store_b64 v[3:4], v[1:2], off
.LBB0_2:
	s_nop 0
	s_sendmsg sendmsg(MSG_DEALLOC_VGPRS)
	s_endpgm
	.section	.rodata,"a",@progbits
	.p2align	6, 0x0
	.amdhsa_kernel fft_rtc_back_len128_factors_8_4_4_wgs_128_tpt_16_sp_op_CI_CI_sbrc_erc_z_xy_aligned
		.amdhsa_group_segment_fixed_size 0
		.amdhsa_private_segment_fixed_size 0
		.amdhsa_kernarg_size 104
		.amdhsa_user_sgpr_count 2
		.amdhsa_user_sgpr_dispatch_ptr 0
		.amdhsa_user_sgpr_queue_ptr 0
		.amdhsa_user_sgpr_kernarg_segment_ptr 1
		.amdhsa_user_sgpr_dispatch_id 0
		.amdhsa_user_sgpr_private_segment_size 0
		.amdhsa_wavefront_size32 1
		.amdhsa_uses_dynamic_stack 0
		.amdhsa_enable_private_segment 0
		.amdhsa_system_sgpr_workgroup_id_x 1
		.amdhsa_system_sgpr_workgroup_id_y 0
		.amdhsa_system_sgpr_workgroup_id_z 0
		.amdhsa_system_sgpr_workgroup_info 0
		.amdhsa_system_vgpr_workitem_id 0
		.amdhsa_next_free_vgpr 56
		.amdhsa_next_free_sgpr 38
		.amdhsa_reserve_vcc 1
		.amdhsa_float_round_mode_32 0
		.amdhsa_float_round_mode_16_64 0
		.amdhsa_float_denorm_mode_32 3
		.amdhsa_float_denorm_mode_16_64 3
		.amdhsa_fp16_overflow 0
		.amdhsa_workgroup_processor_mode 1
		.amdhsa_memory_ordered 1
		.amdhsa_forward_progress 0
		.amdhsa_round_robin_scheduling 0
		.amdhsa_exception_fp_ieee_invalid_op 0
		.amdhsa_exception_fp_denorm_src 0
		.amdhsa_exception_fp_ieee_div_zero 0
		.amdhsa_exception_fp_ieee_overflow 0
		.amdhsa_exception_fp_ieee_underflow 0
		.amdhsa_exception_fp_ieee_inexact 0
		.amdhsa_exception_int_div_zero 0
	.end_amdhsa_kernel
	.text
.Lfunc_end0:
	.size	fft_rtc_back_len128_factors_8_4_4_wgs_128_tpt_16_sp_op_CI_CI_sbrc_erc_z_xy_aligned, .Lfunc_end0-fft_rtc_back_len128_factors_8_4_4_wgs_128_tpt_16_sp_op_CI_CI_sbrc_erc_z_xy_aligned
                                        ; -- End function
	.section	.AMDGPU.csdata,"",@progbits
; Kernel info:
; codeLenInByte = 3264
; NumSgprs: 40
; NumVgprs: 56
; ScratchSize: 0
; MemoryBound: 0
; FloatMode: 240
; IeeeMode: 1
; LDSByteSize: 0 bytes/workgroup (compile time only)
; SGPRBlocks: 4
; VGPRBlocks: 6
; NumSGPRsForWavesPerEU: 40
; NumVGPRsForWavesPerEU: 56
; Occupancy: 16
; WaveLimiterHint : 1
; COMPUTE_PGM_RSRC2:SCRATCH_EN: 0
; COMPUTE_PGM_RSRC2:USER_SGPR: 2
; COMPUTE_PGM_RSRC2:TRAP_HANDLER: 0
; COMPUTE_PGM_RSRC2:TGID_X_EN: 1
; COMPUTE_PGM_RSRC2:TGID_Y_EN: 0
; COMPUTE_PGM_RSRC2:TGID_Z_EN: 0
; COMPUTE_PGM_RSRC2:TIDIG_COMP_CNT: 0
	.text
	.p2alignl 7, 3214868480
	.fill 96, 4, 3214868480
	.type	__hip_cuid_6d6dc93dbfba00e,@object ; @__hip_cuid_6d6dc93dbfba00e
	.section	.bss,"aw",@nobits
	.globl	__hip_cuid_6d6dc93dbfba00e
__hip_cuid_6d6dc93dbfba00e:
	.byte	0                               ; 0x0
	.size	__hip_cuid_6d6dc93dbfba00e, 1

	.ident	"AMD clang version 19.0.0git (https://github.com/RadeonOpenCompute/llvm-project roc-6.4.0 25133 c7fe45cf4b819c5991fe208aaa96edf142730f1d)"
	.section	".note.GNU-stack","",@progbits
	.addrsig
	.addrsig_sym __hip_cuid_6d6dc93dbfba00e
	.amdgpu_metadata
---
amdhsa.kernels:
  - .args:
      - .actual_access:  read_only
        .address_space:  global
        .offset:         0
        .size:           8
        .value_kind:     global_buffer
      - .offset:         8
        .size:           8
        .value_kind:     by_value
      - .actual_access:  read_only
        .address_space:  global
        .offset:         16
        .size:           8
        .value_kind:     global_buffer
      - .actual_access:  read_only
        .address_space:  global
        .offset:         24
        .size:           8
        .value_kind:     global_buffer
      - .actual_access:  read_only
        .address_space:  global
        .offset:         32
        .size:           8
        .value_kind:     global_buffer
      - .offset:         40
        .size:           8
        .value_kind:     by_value
      - .actual_access:  read_only
        .address_space:  global
        .offset:         48
        .size:           8
        .value_kind:     global_buffer
      - .actual_access:  read_only
        .address_space:  global
        .offset:         56
        .size:           8
        .value_kind:     global_buffer
      - .offset:         64
        .size:           4
        .value_kind:     by_value
      - .actual_access:  read_only
        .address_space:  global
        .offset:         72
        .size:           8
        .value_kind:     global_buffer
      - .actual_access:  read_only
        .address_space:  global
        .offset:         80
        .size:           8
        .value_kind:     global_buffer
      - .actual_access:  read_only
        .address_space:  global
        .offset:         88
        .size:           8
        .value_kind:     global_buffer
      - .actual_access:  write_only
        .address_space:  global
        .offset:         96
        .size:           8
        .value_kind:     global_buffer
    .group_segment_fixed_size: 0
    .kernarg_segment_align: 8
    .kernarg_segment_size: 104
    .language:       OpenCL C
    .language_version:
      - 2
      - 0
    .max_flat_workgroup_size: 128
    .name:           fft_rtc_back_len128_factors_8_4_4_wgs_128_tpt_16_sp_op_CI_CI_sbrc_erc_z_xy_aligned
    .private_segment_fixed_size: 0
    .sgpr_count:     40
    .sgpr_spill_count: 0
    .symbol:         fft_rtc_back_len128_factors_8_4_4_wgs_128_tpt_16_sp_op_CI_CI_sbrc_erc_z_xy_aligned.kd
    .uniform_work_group_size: 1
    .uses_dynamic_stack: false
    .vgpr_count:     56
    .vgpr_spill_count: 0
    .wavefront_size: 32
    .workgroup_processor_mode: 1
amdhsa.target:   amdgcn-amd-amdhsa--gfx1201
amdhsa.version:
  - 1
  - 2
...

	.end_amdgpu_metadata
